;; amdgpu-corpus repo=ROCm/rocFFT kind=compiled arch=gfx1030 opt=O3
	.text
	.amdgcn_target "amdgcn-amd-amdhsa--gfx1030"
	.amdhsa_code_object_version 6
	.protected	fft_rtc_back_len1300_factors_10_10_13_wgs_130_tpt_130_half_ip_CI_unitstride_sbrr_C2R_dirReg ; -- Begin function fft_rtc_back_len1300_factors_10_10_13_wgs_130_tpt_130_half_ip_CI_unitstride_sbrr_C2R_dirReg
	.globl	fft_rtc_back_len1300_factors_10_10_13_wgs_130_tpt_130_half_ip_CI_unitstride_sbrr_C2R_dirReg
	.p2align	8
	.type	fft_rtc_back_len1300_factors_10_10_13_wgs_130_tpt_130_half_ip_CI_unitstride_sbrr_C2R_dirReg,@function
fft_rtc_back_len1300_factors_10_10_13_wgs_130_tpt_130_half_ip_CI_unitstride_sbrr_C2R_dirReg: ; @fft_rtc_back_len1300_factors_10_10_13_wgs_130_tpt_130_half_ip_CI_unitstride_sbrr_C2R_dirReg
; %bb.0:
	s_clause 0x2
	s_load_dwordx4 s[8:11], s[4:5], 0x0
	s_load_dwordx2 s[2:3], s[4:5], 0x50
	s_load_dwordx2 s[12:13], s[4:5], 0x18
	v_mul_u32_u24_e32 v1, 0x1f9, v0
	v_mov_b32_e32 v3, 0
	v_add_nc_u32_sdwa v5, s6, v1 dst_sel:DWORD dst_unused:UNUSED_PAD src0_sel:DWORD src1_sel:WORD_1
	v_mov_b32_e32 v1, 0
	v_mov_b32_e32 v6, v3
	v_mov_b32_e32 v2, 0
	s_waitcnt lgkmcnt(0)
	v_cmp_lt_u64_e64 s0, s[10:11], 2
	s_and_b32 vcc_lo, exec_lo, s0
	s_cbranch_vccnz .LBB0_8
; %bb.1:
	s_load_dwordx2 s[0:1], s[4:5], 0x10
	v_mov_b32_e32 v1, 0
	s_add_u32 s6, s12, 8
	v_mov_b32_e32 v2, 0
	s_addc_u32 s7, s13, 0
	s_mov_b64 s[16:17], 1
	s_waitcnt lgkmcnt(0)
	s_add_u32 s14, s0, 8
	s_addc_u32 s15, s1, 0
.LBB0_2:                                ; =>This Inner Loop Header: Depth=1
	s_load_dwordx2 s[18:19], s[14:15], 0x0
                                        ; implicit-def: $vgpr7_vgpr8
	s_mov_b32 s0, exec_lo
	s_waitcnt lgkmcnt(0)
	v_or_b32_e32 v4, s19, v6
	v_cmpx_ne_u64_e32 0, v[3:4]
	s_xor_b32 s1, exec_lo, s0
	s_cbranch_execz .LBB0_4
; %bb.3:                                ;   in Loop: Header=BB0_2 Depth=1
	v_cvt_f32_u32_e32 v4, s18
	v_cvt_f32_u32_e32 v7, s19
	s_sub_u32 s0, 0, s18
	s_subb_u32 s20, 0, s19
	v_fmac_f32_e32 v4, 0x4f800000, v7
	v_rcp_f32_e32 v4, v4
	v_mul_f32_e32 v4, 0x5f7ffffc, v4
	v_mul_f32_e32 v7, 0x2f800000, v4
	v_trunc_f32_e32 v7, v7
	v_fmac_f32_e32 v4, 0xcf800000, v7
	v_cvt_u32_f32_e32 v7, v7
	v_cvt_u32_f32_e32 v4, v4
	v_mul_lo_u32 v8, s0, v7
	v_mul_hi_u32 v9, s0, v4
	v_mul_lo_u32 v10, s20, v4
	v_add_nc_u32_e32 v8, v9, v8
	v_mul_lo_u32 v9, s0, v4
	v_add_nc_u32_e32 v8, v8, v10
	v_mul_hi_u32 v10, v4, v9
	v_mul_lo_u32 v11, v4, v8
	v_mul_hi_u32 v12, v4, v8
	v_mul_hi_u32 v13, v7, v9
	v_mul_lo_u32 v9, v7, v9
	v_mul_hi_u32 v14, v7, v8
	v_mul_lo_u32 v8, v7, v8
	v_add_co_u32 v10, vcc_lo, v10, v11
	v_add_co_ci_u32_e32 v11, vcc_lo, 0, v12, vcc_lo
	v_add_co_u32 v9, vcc_lo, v10, v9
	v_add_co_ci_u32_e32 v9, vcc_lo, v11, v13, vcc_lo
	v_add_co_ci_u32_e32 v10, vcc_lo, 0, v14, vcc_lo
	v_add_co_u32 v8, vcc_lo, v9, v8
	v_add_co_ci_u32_e32 v9, vcc_lo, 0, v10, vcc_lo
	v_add_co_u32 v4, vcc_lo, v4, v8
	v_add_co_ci_u32_e32 v7, vcc_lo, v7, v9, vcc_lo
	v_mul_hi_u32 v8, s0, v4
	v_mul_lo_u32 v10, s20, v4
	v_mul_lo_u32 v9, s0, v7
	v_add_nc_u32_e32 v8, v8, v9
	v_mul_lo_u32 v9, s0, v4
	v_add_nc_u32_e32 v8, v8, v10
	v_mul_hi_u32 v10, v4, v9
	v_mul_lo_u32 v11, v4, v8
	v_mul_hi_u32 v12, v4, v8
	v_mul_hi_u32 v13, v7, v9
	v_mul_lo_u32 v9, v7, v9
	v_mul_hi_u32 v14, v7, v8
	v_mul_lo_u32 v8, v7, v8
	v_add_co_u32 v10, vcc_lo, v10, v11
	v_add_co_ci_u32_e32 v11, vcc_lo, 0, v12, vcc_lo
	v_add_co_u32 v9, vcc_lo, v10, v9
	v_add_co_ci_u32_e32 v9, vcc_lo, v11, v13, vcc_lo
	v_add_co_ci_u32_e32 v10, vcc_lo, 0, v14, vcc_lo
	v_add_co_u32 v8, vcc_lo, v9, v8
	v_add_co_ci_u32_e32 v9, vcc_lo, 0, v10, vcc_lo
	v_add_co_u32 v4, vcc_lo, v4, v8
	v_add_co_ci_u32_e32 v11, vcc_lo, v7, v9, vcc_lo
	v_mul_hi_u32 v13, v5, v4
	v_mad_u64_u32 v[9:10], null, v6, v4, 0
	v_mad_u64_u32 v[7:8], null, v5, v11, 0
	;; [unrolled: 1-line block ×3, first 2 shown]
	v_add_co_u32 v4, vcc_lo, v13, v7
	v_add_co_ci_u32_e32 v7, vcc_lo, 0, v8, vcc_lo
	v_add_co_u32 v4, vcc_lo, v4, v9
	v_add_co_ci_u32_e32 v4, vcc_lo, v7, v10, vcc_lo
	v_add_co_ci_u32_e32 v7, vcc_lo, 0, v12, vcc_lo
	v_add_co_u32 v4, vcc_lo, v4, v11
	v_add_co_ci_u32_e32 v9, vcc_lo, 0, v7, vcc_lo
	v_mul_lo_u32 v10, s19, v4
	v_mad_u64_u32 v[7:8], null, s18, v4, 0
	v_mul_lo_u32 v11, s18, v9
	v_sub_co_u32 v7, vcc_lo, v5, v7
	v_add3_u32 v8, v8, v11, v10
	v_sub_nc_u32_e32 v10, v6, v8
	v_subrev_co_ci_u32_e64 v10, s0, s19, v10, vcc_lo
	v_add_co_u32 v11, s0, v4, 2
	v_add_co_ci_u32_e64 v12, s0, 0, v9, s0
	v_sub_co_u32 v13, s0, v7, s18
	v_sub_co_ci_u32_e32 v8, vcc_lo, v6, v8, vcc_lo
	v_subrev_co_ci_u32_e64 v10, s0, 0, v10, s0
	v_cmp_le_u32_e32 vcc_lo, s18, v13
	v_cmp_eq_u32_e64 s0, s19, v8
	v_cndmask_b32_e64 v13, 0, -1, vcc_lo
	v_cmp_le_u32_e32 vcc_lo, s19, v10
	v_cndmask_b32_e64 v14, 0, -1, vcc_lo
	v_cmp_le_u32_e32 vcc_lo, s18, v7
	;; [unrolled: 2-line block ×3, first 2 shown]
	v_cndmask_b32_e64 v15, 0, -1, vcc_lo
	v_cmp_eq_u32_e32 vcc_lo, s19, v10
	v_cndmask_b32_e64 v7, v15, v7, s0
	v_cndmask_b32_e32 v10, v14, v13, vcc_lo
	v_add_co_u32 v13, vcc_lo, v4, 1
	v_add_co_ci_u32_e32 v14, vcc_lo, 0, v9, vcc_lo
	v_cmp_ne_u32_e32 vcc_lo, 0, v10
	v_cndmask_b32_e32 v8, v14, v12, vcc_lo
	v_cndmask_b32_e32 v10, v13, v11, vcc_lo
	v_cmp_ne_u32_e32 vcc_lo, 0, v7
	v_cndmask_b32_e32 v8, v9, v8, vcc_lo
	v_cndmask_b32_e32 v7, v4, v10, vcc_lo
.LBB0_4:                                ;   in Loop: Header=BB0_2 Depth=1
	s_andn2_saveexec_b32 s0, s1
	s_cbranch_execz .LBB0_6
; %bb.5:                                ;   in Loop: Header=BB0_2 Depth=1
	v_cvt_f32_u32_e32 v4, s18
	s_sub_i32 s1, 0, s18
	v_rcp_iflag_f32_e32 v4, v4
	v_mul_f32_e32 v4, 0x4f7ffffe, v4
	v_cvt_u32_f32_e32 v4, v4
	v_mul_lo_u32 v7, s1, v4
	v_mul_hi_u32 v7, v4, v7
	v_add_nc_u32_e32 v4, v4, v7
	v_mul_hi_u32 v4, v5, v4
	v_mul_lo_u32 v7, v4, s18
	v_add_nc_u32_e32 v8, 1, v4
	v_sub_nc_u32_e32 v7, v5, v7
	v_subrev_nc_u32_e32 v9, s18, v7
	v_cmp_le_u32_e32 vcc_lo, s18, v7
	v_cndmask_b32_e32 v7, v7, v9, vcc_lo
	v_cndmask_b32_e32 v4, v4, v8, vcc_lo
	v_cmp_le_u32_e32 vcc_lo, s18, v7
	v_add_nc_u32_e32 v8, 1, v4
	v_cndmask_b32_e32 v7, v4, v8, vcc_lo
	v_mov_b32_e32 v8, v3
.LBB0_6:                                ;   in Loop: Header=BB0_2 Depth=1
	s_or_b32 exec_lo, exec_lo, s0
	s_load_dwordx2 s[0:1], s[6:7], 0x0
	v_mul_lo_u32 v4, v8, s18
	v_mul_lo_u32 v11, v7, s19
	v_mad_u64_u32 v[9:10], null, v7, s18, 0
	s_add_u32 s16, s16, 1
	s_addc_u32 s17, s17, 0
	s_add_u32 s6, s6, 8
	s_addc_u32 s7, s7, 0
	;; [unrolled: 2-line block ×3, first 2 shown]
	v_add3_u32 v4, v10, v11, v4
	v_sub_co_u32 v5, vcc_lo, v5, v9
	v_sub_co_ci_u32_e32 v4, vcc_lo, v6, v4, vcc_lo
	s_waitcnt lgkmcnt(0)
	v_mul_lo_u32 v6, s1, v5
	v_mul_lo_u32 v4, s0, v4
	v_mad_u64_u32 v[1:2], null, s0, v5, v[1:2]
	v_cmp_ge_u64_e64 s0, s[16:17], s[10:11]
	s_and_b32 vcc_lo, exec_lo, s0
	v_add3_u32 v2, v6, v2, v4
	s_cbranch_vccnz .LBB0_9
; %bb.7:                                ;   in Loop: Header=BB0_2 Depth=1
	v_mov_b32_e32 v5, v7
	v_mov_b32_e32 v6, v8
	s_branch .LBB0_2
.LBB0_8:
	v_mov_b32_e32 v8, v6
	v_mov_b32_e32 v7, v5
.LBB0_9:
	s_lshl_b64 s[0:1], s[10:11], 3
	v_mul_hi_u32 v5, 0x1f81f82, v0
	s_add_u32 s0, s12, s0
	s_addc_u32 s1, s13, s1
	s_load_dwordx2 s[0:1], s[0:1], 0x0
	s_load_dwordx2 s[4:5], s[4:5], 0x20
	s_waitcnt lgkmcnt(0)
	v_mul_lo_u32 v3, s0, v8
	v_mul_lo_u32 v4, s1, v7
	v_mad_u64_u32 v[1:2], null, s0, v7, v[1:2]
	v_cmp_gt_u64_e32 vcc_lo, s[4:5], v[7:8]
	v_add3_u32 v2, v4, v2, v3
	v_mul_u32_u24_e32 v4, 0x82, v5
	v_lshlrev_b64 v[2:3], 2, v[1:2]
	v_sub_nc_u32_e32 v0, v0, v4
	s_and_saveexec_b32 s1, vcc_lo
	s_cbranch_execz .LBB0_13
; %bb.10:
	v_mov_b32_e32 v1, 0
	v_add_co_u32 v4, s0, s2, v2
	v_add_co_ci_u32_e64 v5, s0, s3, v3, s0
	v_lshlrev_b64 v[6:7], 2, v[0:1]
	s_mov_b32 s4, exec_lo
	v_add_co_u32 v6, s0, v4, v6
	v_add_co_ci_u32_e64 v7, s0, v5, v7, s0
	v_add_co_u32 v8, s0, 0x800, v6
	v_add_co_ci_u32_e64 v9, s0, 0, v7, s0
	;; [unrolled: 2-line block ×3, first 2 shown]
	s_clause 0x9
	global_load_dword v12, v[6:7], off
	global_load_dword v13, v[6:7], off offset:520
	global_load_dword v14, v[6:7], off offset:1040
	;; [unrolled: 1-line block ×9, first 2 shown]
	v_lshl_add_u32 v11, v0, 2, 0
	v_add_nc_u32_e32 v17, 0x400, v11
	v_add_nc_u32_e32 v18, 0x800, v11
	;; [unrolled: 1-line block ×4, first 2 shown]
	s_waitcnt vmcnt(8)
	ds_write2_b32 v11, v12, v13 offset1:130
	s_waitcnt vmcnt(6)
	ds_write2_b32 v17, v14, v6 offset0:4 offset1:134
	s_waitcnt vmcnt(4)
	ds_write2_b32 v18, v7, v15 offset0:8 offset1:138
	;; [unrolled: 2-line block ×4, first 2 shown]
	v_cmpx_eq_u32_e32 0x81, v0
	s_cbranch_execz .LBB0_12
; %bb.11:
	v_add_co_u32 v4, s0, 0x1000, v4
	v_add_co_ci_u32_e64 v5, s0, 0, v5, s0
	v_mov_b32_e32 v0, 0x81
	global_load_dword v4, v[4:5], off offset:1104
	s_waitcnt vmcnt(0)
	ds_write_b32 v1, v4 offset:5200
.LBB0_12:
	s_or_b32 exec_lo, exec_lo, s4
.LBB0_13:
	s_or_b32 exec_lo, exec_lo, s1
	v_lshlrev_b32_e32 v1, 2, v0
	s_waitcnt lgkmcnt(0)
	s_barrier
	buffer_gl0_inv
	s_add_u32 s1, s8, 0x1428
	v_add_nc_u32_e32 v16, 0, v1
	v_sub_nc_u32_e32 v6, 0, v1
	s_addc_u32 s4, s9, 0
	s_mov_b32 s5, exec_lo
                                        ; implicit-def: $vgpr4_vgpr5
	ds_read_u16 v9, v16
	ds_read_u16 v10, v6 offset:5200
	s_waitcnt lgkmcnt(0)
	v_add_f16_e32 v8, v10, v9
	v_sub_f16_e32 v7, v9, v10
	v_cmpx_ne_u32_e32 0, v0
	s_xor_b32 s5, exec_lo, s5
	s_cbranch_execz .LBB0_15
; %bb.14:
	v_mov_b32_e32 v1, 0
	v_add_f16_e32 v8, v10, v9
	v_sub_f16_e32 v9, v9, v10
	v_lshlrev_b64 v[4:5], 2, v[0:1]
	v_add_co_u32 v4, s0, s1, v4
	v_add_co_ci_u32_e64 v5, s0, s4, v5, s0
	global_load_dword v4, v[4:5], off
	ds_read_u16 v5, v6 offset:5202
	ds_read_u16 v7, v16 offset:2
	s_waitcnt lgkmcnt(0)
	v_add_f16_e32 v10, v5, v7
	v_sub_f16_e32 v5, v7, v5
	s_waitcnt vmcnt(0)
	v_lshrrev_b32_e32 v11, 16, v4
	v_fma_f16 v12, -v9, v11, v8
	v_fma_f16 v13, v10, v11, -v5
	v_fma_f16 v7, v10, v11, v5
	v_fma_f16 v8, v9, v11, v8
	v_fmac_f16_e32 v12, v4, v10
	v_fmac_f16_e32 v13, v9, v4
	v_fmac_f16_e32 v7, v9, v4
	v_fma_f16 v8, -v4, v10, v8
	v_mov_b32_e32 v5, v1
	v_mov_b32_e32 v4, v0
	v_pack_b32_f16 v9, v12, v13
	ds_write_b32 v6, v9 offset:5200
.LBB0_15:
	s_andn2_saveexec_b32 s0, s5
	s_cbranch_execz .LBB0_17
; %bb.16:
	v_mov_b32_e32 v1, 0
	ds_read_b32 v4, v1 offset:2600
	s_waitcnt lgkmcnt(0)
	v_pk_mul_f16 v9, 0xc0004000, v4
	v_mov_b32_e32 v4, 0
	v_mov_b32_e32 v5, 0
	ds_write_b32 v1, v9 offset:2600
.LBB0_17:
	s_or_b32 exec_lo, exec_lo, s0
	v_lshlrev_b64 v[4:5], 2, v[4:5]
	v_add_nc_u32_e32 v17, 0x800, v16
	v_add_nc_u32_e32 v18, 0xc00, v16
	;; [unrolled: 1-line block ×3, first 2 shown]
	v_mad_u32_u24 v19, v0, 36, v16
	v_add_co_u32 v4, s0, s1, v4
	v_add_co_ci_u32_e64 v5, s0, s4, v5, s0
	s_clause 0x2
	global_load_dword v1, v[4:5], off offset:520
	global_load_dword v9, v[4:5], off offset:1040
	;; [unrolled: 1-line block ×3, first 2 shown]
	v_add_co_u32 v4, s0, 0x800, v4
	v_add_co_ci_u32_e64 v5, s0, 0, v5, s0
	v_cmp_gt_u32_e64 s0, 0x64, v0
	global_load_dword v4, v[4:5], off offset:32
	v_perm_b32 v5, v7, v8, 0x5040100
	ds_write_b32 v16, v5
	ds_read_b32 v5, v16 offset:520
	ds_read_b32 v7, v6 offset:4680
	s_waitcnt lgkmcnt(0)
	v_add_f16_e32 v8, v5, v7
	v_add_f16_sdwa v11, v7, v5 dst_sel:DWORD dst_unused:UNUSED_PAD src0_sel:WORD_1 src1_sel:WORD_1
	v_sub_f16_e32 v12, v5, v7
	v_sub_f16_sdwa v5, v5, v7 dst_sel:DWORD dst_unused:UNUSED_PAD src0_sel:WORD_1 src1_sel:WORD_1
	s_waitcnt vmcnt(3)
	v_lshrrev_b32_e32 v13, 16, v1
	v_fma_f16 v7, v12, v13, v8
	v_fma_f16 v14, v11, v13, v5
	v_fma_f16 v8, -v12, v13, v8
	v_fma_f16 v5, v11, v13, -v5
	v_fma_f16 v7, -v1, v11, v7
	v_fmac_f16_e32 v14, v12, v1
	v_fmac_f16_e32 v8, v1, v11
	;; [unrolled: 1-line block ×3, first 2 shown]
	v_pack_b32_f16 v1, v7, v14
	s_waitcnt vmcnt(2)
	v_lshrrev_b32_e32 v7, 16, v9
	v_pack_b32_f16 v5, v8, v5
	v_add_nc_u32_e32 v14, 0x400, v16
	ds_write_b32 v16, v1 offset:520
	ds_write_b32 v6, v5 offset:4680
	ds_read_b32 v1, v16 offset:1040
	ds_read_b32 v5, v6 offset:4160
	s_waitcnt lgkmcnt(0)
	v_add_f16_e32 v8, v1, v5
	v_add_f16_sdwa v11, v5, v1 dst_sel:DWORD dst_unused:UNUSED_PAD src0_sel:WORD_1 src1_sel:WORD_1
	v_sub_f16_e32 v12, v1, v5
	v_sub_f16_sdwa v1, v1, v5 dst_sel:DWORD dst_unused:UNUSED_PAD src0_sel:WORD_1 src1_sel:WORD_1
	v_fma_f16 v5, v12, v7, v8
	v_fma_f16 v13, v11, v7, v1
	v_fma_f16 v8, -v12, v7, v8
	v_fma_f16 v1, v11, v7, -v1
	s_waitcnt vmcnt(1)
	v_lshrrev_b32_e32 v7, 16, v10
	v_fma_f16 v5, -v9, v11, v5
	v_fmac_f16_e32 v13, v12, v9
	v_fmac_f16_e32 v8, v9, v11
	;; [unrolled: 1-line block ×3, first 2 shown]
	v_pack_b32_f16 v5, v5, v13
	v_pack_b32_f16 v1, v8, v1
	ds_write_b32 v16, v5 offset:1040
	ds_write_b32 v6, v1 offset:4160
	ds_read_b32 v1, v16 offset:1560
	ds_read_b32 v5, v6 offset:3640
	s_waitcnt lgkmcnt(0)
	v_add_f16_e32 v8, v1, v5
	v_add_f16_sdwa v9, v5, v1 dst_sel:DWORD dst_unused:UNUSED_PAD src0_sel:WORD_1 src1_sel:WORD_1
	v_sub_f16_e32 v11, v1, v5
	v_sub_f16_sdwa v1, v1, v5 dst_sel:DWORD dst_unused:UNUSED_PAD src0_sel:WORD_1 src1_sel:WORD_1
	v_fma_f16 v5, v11, v7, v8
	v_fma_f16 v12, v9, v7, v1
	v_fma_f16 v8, -v11, v7, v8
	v_fma_f16 v1, v9, v7, -v1
	s_waitcnt vmcnt(0)
	v_lshrrev_b32_e32 v7, 16, v4
	v_fma_f16 v5, -v10, v9, v5
	v_fmac_f16_e32 v12, v11, v10
	v_fmac_f16_e32 v8, v10, v9
	;; [unrolled: 1-line block ×3, first 2 shown]
	v_pack_b32_f16 v5, v5, v12
	v_pack_b32_f16 v1, v8, v1
	ds_write_b32 v16, v5 offset:1560
	ds_write_b32 v6, v1 offset:3640
	ds_read_b32 v1, v16 offset:2080
	ds_read_b32 v5, v6 offset:3120
	s_waitcnt lgkmcnt(0)
	v_add_f16_e32 v8, v1, v5
	v_add_f16_sdwa v9, v5, v1 dst_sel:DWORD dst_unused:UNUSED_PAD src0_sel:WORD_1 src1_sel:WORD_1
	v_sub_f16_e32 v10, v1, v5
	v_sub_f16_sdwa v1, v1, v5 dst_sel:DWORD dst_unused:UNUSED_PAD src0_sel:WORD_1 src1_sel:WORD_1
	v_and_b32_e32 v5, 0xff, v0
	v_fma_f16 v11, v10, v7, v8
	v_fma_f16 v12, v9, v7, v1
	v_mul_lo_u16 v5, 0xcd, v5
	v_fma_f16 v8, -v10, v7, v8
	v_fma_f16 v1, v9, v7, -v1
	v_fma_f16 v7, -v4, v9, v11
	v_fmac_f16_e32 v12, v10, v4
	v_lshrrev_b16 v15, 11, v5
	v_fmac_f16_e32 v8, v4, v9
	v_fmac_f16_e32 v1, v10, v4
	v_pack_b32_f16 v4, v7, v12
	v_mul_lo_u16 v12, v15, 10
	v_pack_b32_f16 v1, v8, v1
	ds_write_b32 v16, v4 offset:2080
	ds_write_b32 v6, v1 offset:3120
	s_waitcnt lgkmcnt(0)
	s_barrier
	buffer_gl0_inv
	s_barrier
	buffer_gl0_inv
	ds_read2_b32 v[4:5], v14 offset0:4 offset1:134
	ds_read2_b32 v[6:7], v17 offset0:8 offset1:138
	;; [unrolled: 1-line block ×4, first 2 shown]
	v_sub_nc_u16 v27, v0, v12
	ds_read2_b32 v[12:13], v16 offset1:130
	v_mov_b32_e32 v1, 9
	s_waitcnt lgkmcnt(0)
	s_barrier
	buffer_gl0_inv
	v_mul_u32_u24_sdwa v1, v27, v1 dst_sel:DWORD dst_unused:UNUSED_PAD src0_sel:BYTE_0 src1_sel:DWORD
	v_lshlrev_b32_e32 v1, 2, v1
	v_sub_f16_e32 v25, v4, v6
	v_sub_f16_e32 v29, v6, v4
	;; [unrolled: 1-line block ×4, first 2 shown]
	v_sub_f16_sdwa v35, v4, v6 dst_sel:DWORD dst_unused:UNUSED_PAD src0_sel:WORD_1 src1_sel:WORD_1
	v_sub_f16_sdwa v36, v10, v8 dst_sel:DWORD dst_unused:UNUSED_PAD src0_sel:WORD_1 src1_sel:WORD_1
	v_add_f16_e32 v39, v7, v9
	v_pk_add_f16 v47, v13, v5
	v_add_f16_sdwa v48, v7, v9 dst_sel:DWORD dst_unused:UNUSED_PAD src0_sel:WORD_1 src1_sel:WORD_1
	v_lshrrev_b32_e32 v49, 16, v13
	v_add_f16_sdwa v54, v5, v11 dst_sel:DWORD dst_unused:UNUSED_PAD src0_sel:WORD_1 src1_sel:WORD_1
	v_add_f16_e32 v20, v6, v8
	v_add_f16_e32 v26, v4, v10
	v_pk_add_f16 v30, v12, v4
	v_add_f16_sdwa v31, v6, v8 dst_sel:DWORD dst_unused:UNUSED_PAD src0_sel:WORD_1 src1_sel:WORD_1
	v_lshrrev_b32_e32 v32, 16, v12
	v_add_f16_sdwa v37, v4, v10 dst_sel:DWORD dst_unused:UNUSED_PAD src0_sel:WORD_1 src1_sel:WORD_1
	v_sub_f16_sdwa v40, v5, v11 dst_sel:DWORD dst_unused:UNUSED_PAD src0_sel:WORD_1 src1_sel:WORD_1
	v_sub_f16_sdwa v41, v7, v9 dst_sel:DWORD dst_unused:UNUSED_PAD src0_sel:WORD_1 src1_sel:WORD_1
	v_sub_f16_e32 v42, v11, v9
	v_sub_f16_e32 v43, v5, v7
	v_add_f16_e32 v44, v5, v11
	v_sub_f16_e32 v46, v7, v5
	v_sub_f16_e32 v50, v5, v11
	;; [unrolled: 1-line block ×3, first 2 shown]
	v_sub_f16_sdwa v52, v5, v7 dst_sel:DWORD dst_unused:UNUSED_PAD src0_sel:WORD_1 src1_sel:WORD_1
	v_sub_f16_sdwa v5, v7, v5 dst_sel:DWORD dst_unused:UNUSED_PAD src0_sel:WORD_1 src1_sel:WORD_1
	v_add_f16_e32 v24, v25, v24
	v_add_f16_e32 v25, v29, v28
	;; [unrolled: 1-line block ×3, first 2 shown]
	v_fma_f16 v29, -0.5, v39, v13
	v_pk_add_f16 v7, v47, v7
	v_fma_f16 v35, -0.5, v48, v49
	v_fmac_f16_e32 v49, -0.5, v54
	v_sub_f16_sdwa v22, v4, v10 dst_sel:DWORD dst_unused:UNUSED_PAD src0_sel:WORD_1 src1_sel:WORD_1
	v_sub_f16_sdwa v23, v6, v8 dst_sel:DWORD dst_unused:UNUSED_PAD src0_sel:WORD_1 src1_sel:WORD_1
	v_sub_f16_e32 v33, v4, v10
	v_sub_f16_e32 v34, v6, v8
	v_sub_f16_sdwa v4, v6, v4 dst_sel:DWORD dst_unused:UNUSED_PAD src0_sel:WORD_1 src1_sel:WORD_1
	v_sub_f16_e32 v45, v9, v11
	v_sub_f16_sdwa v53, v11, v9 dst_sel:DWORD dst_unused:UNUSED_PAD src0_sel:WORD_1 src1_sel:WORD_1
	v_sub_f16_sdwa v55, v9, v11 dst_sel:DWORD dst_unused:UNUSED_PAD src0_sel:WORD_1 src1_sel:WORD_1
	v_fma_f16 v20, -0.5, v20, v12
	v_fma_f16 v12, -0.5, v26, v12
	v_pk_add_f16 v6, v30, v6
	v_fma_f16 v26, -0.5, v31, v32
	v_fmac_f16_e32 v32, -0.5, v37
	v_add_f16_e32 v30, v43, v42
	v_fmamk_f16 v42, v40, 0xbb9c, v29
	v_pk_add_f16 v7, v7, v9
	v_fmamk_f16 v9, v50, 0x3b9c, v35
	v_fma_f16 v13, -0.5, v44, v13
	v_fmamk_f16 v44, v51, 0xbb9c, v49
	v_fmac_f16_e32 v49, 0x3b9c, v51
	v_sub_f16_sdwa v38, v8, v10 dst_sel:DWORD dst_unused:UNUSED_PAD src0_sel:WORD_1 src1_sel:WORD_1
	v_fmac_f16_e32 v35, 0xbb9c, v50
	v_add_f16_e32 v36, v52, v53
	v_pk_add_f16 v6, v6, v8
	v_fmamk_f16 v39, v34, 0xbb9c, v32
	v_fmac_f16_e32 v32, 0x3b9c, v34
	v_fmac_f16_e32 v42, 0xb8b4, v41
	;; [unrolled: 1-line block ×3, first 2 shown]
	v_add_f16_e32 v5, v5, v55
	v_fmamk_f16 v37, v22, 0xbb9c, v20
	v_fmac_f16_e32 v20, 0x3b9c, v22
	v_fmamk_f16 v43, v41, 0x3b9c, v13
	v_fmac_f16_e32 v13, 0xbb9c, v41
	v_fmac_f16_e32 v44, 0x38b4, v50
	;; [unrolled: 1-line block ×3, first 2 shown]
	v_add_f16_e32 v4, v4, v38
	v_fmamk_f16 v38, v23, 0x3b9c, v12
	v_fmac_f16_e32 v12, 0xbb9c, v23
	v_fmac_f16_e32 v29, 0x3b9c, v40
	;; [unrolled: 1-line block ×3, first 2 shown]
	v_fmamk_f16 v8, v33, 0x3b9c, v26
	v_pk_add_f16 v6, v6, v10
	v_fmac_f16_e32 v39, 0x38b4, v33
	v_fmac_f16_e32 v32, 0xb8b4, v33
	v_pk_add_f16 v7, v7, v11
	v_fmac_f16_e32 v42, 0x34f2, v30
	v_fmac_f16_e32 v9, 0x34f2, v36
	v_add_f16_e32 v31, v46, v45
	v_fmac_f16_e32 v37, 0xb8b4, v23
	v_fmac_f16_e32 v20, 0x38b4, v23
	;; [unrolled: 1-line block ×14, first 2 shown]
	v_pk_add_f16 v4, v6, v7
	v_pk_add_f16 v5, v6, v7 neg_lo:[0,1] neg_hi:[0,1]
	v_mul_f16_e32 v6, 0xb8b4, v9
	v_mul_f16_e32 v22, 0x38b4, v42
	v_fmac_f16_e32 v37, 0x34f2, v24
	v_fmac_f16_e32 v20, 0x34f2, v24
	;; [unrolled: 1-line block ×4, first 2 shown]
	v_mul_f16_e32 v7, 0xbb9c, v44
	v_mul_f16_e32 v10, 0xbb9c, v49
	;; [unrolled: 1-line block ×4, first 2 shown]
	v_fmac_f16_e32 v26, 0xb8b4, v34
	v_fmac_f16_e32 v38, 0x34f2, v25
	;; [unrolled: 1-line block ×4, first 2 shown]
	v_mul_f16_e32 v11, 0xb8b4, v35
	v_mul_f16_e32 v25, 0xba79, v35
	v_fmac_f16_e32 v8, 0x34f2, v28
	v_fmac_f16_e32 v6, 0x3a79, v42
	;; [unrolled: 1-line block ×10, first 2 shown]
	v_add_f16_e32 v9, v37, v6
	v_add_f16_e32 v30, v8, v22
	;; [unrolled: 1-line block ×8, first 2 shown]
	v_sub_f16_e32 v6, v37, v6
	v_sub_f16_e32 v7, v38, v7
	;; [unrolled: 1-line block ×8, first 2 shown]
	v_pack_b32_f16 v9, v9, v30
	v_pack_b32_f16 v23, v28, v33
	;; [unrolled: 1-line block ×8, first 2 shown]
	ds_write2_b32 v19, v4, v9 offset1:1
	ds_write2_b32 v19, v13, v23 offset0:2 offset1:3
	ds_write2_b32 v19, v24, v5 offset0:4 offset1:5
	;; [unrolled: 1-line block ×4, first 2 shown]
	s_waitcnt lgkmcnt(0)
	s_barrier
	buffer_gl0_inv
	s_clause 0x2
	global_load_dwordx4 v[4:7], v1, s[8:9]
	global_load_dwordx4 v[8:11], v1, s[8:9] offset:16
	global_load_dword v1, v1, s[8:9] offset:32
	ds_read2_b32 v[19:20], v16 offset1:130
	ds_read2_b32 v[12:13], v18 offset0:12 offset1:142
	ds_read2_b32 v[21:22], v21 offset0:16 offset1:146
	;; [unrolled: 1-line block ×4, first 2 shown]
	v_mov_b32_e32 v28, 0x190
	v_mov_b32_e32 v29, 2
	s_waitcnt vmcnt(0) lgkmcnt(0)
	s_barrier
	buffer_gl0_inv
	v_mul_u32_u24_sdwa v15, v15, v28 dst_sel:DWORD dst_unused:UNUSED_PAD src0_sel:WORD_0 src1_sel:DWORD
	v_lshlrev_b32_sdwa v27, v29, v27 dst_sel:DWORD dst_unused:UNUSED_PAD src0_sel:DWORD src1_sel:BYTE_0
	v_add3_u32 v15, 0, v15, v27
	v_lshrrev_b32_e32 v32, 16, v20
	v_lshrrev_b32_e32 v27, 16, v12
	;; [unrolled: 1-line block ×10, first 2 shown]
	v_mul_f16_sdwa v37, v4, v32 dst_sel:DWORD dst_unused:UNUSED_PAD src0_sel:WORD_1 src1_sel:DWORD
	v_mul_f16_sdwa v38, v4, v20 dst_sel:DWORD dst_unused:UNUSED_PAD src0_sel:WORD_1 src1_sel:DWORD
	;; [unrolled: 1-line block ×10, first 2 shown]
	v_mul_f16_sdwa v47, v27, v9 dst_sel:DWORD dst_unused:UNUSED_PAD src0_sel:DWORD src1_sel:WORD_1
	v_mul_f16_sdwa v48, v12, v9 dst_sel:DWORD dst_unused:UNUSED_PAD src0_sel:DWORD src1_sel:WORD_1
	v_mul_f16_sdwa v49, v29, v10 dst_sel:DWORD dst_unused:UNUSED_PAD src0_sel:DWORD src1_sel:WORD_1
	v_mul_f16_sdwa v50, v13, v10 dst_sel:DWORD dst_unused:UNUSED_PAD src0_sel:DWORD src1_sel:WORD_1
	v_mul_f16_sdwa v51, v30, v11 dst_sel:DWORD dst_unused:UNUSED_PAD src0_sel:DWORD src1_sel:WORD_1
	v_mul_f16_sdwa v52, v21, v11 dst_sel:DWORD dst_unused:UNUSED_PAD src0_sel:DWORD src1_sel:WORD_1
	v_mul_f16_sdwa v53, v31, v1 dst_sel:DWORD dst_unused:UNUSED_PAD src0_sel:DWORD src1_sel:WORD_1
	v_mul_f16_sdwa v54, v22, v1 dst_sel:DWORD dst_unused:UNUSED_PAD src0_sel:DWORD src1_sel:WORD_1
	v_fmac_f16_e32 v37, v4, v20
	v_fma_f16 v20, v4, v32, -v38
	v_fmac_f16_e32 v39, v5, v23
	v_fma_f16 v4, v5, v33, -v40
	;; [unrolled: 2-line block ×9, first 2 shown]
	v_add_f16_e32 v11, v19, v39
	v_add_f16_e32 v12, v43, v47
	;; [unrolled: 1-line block ×3, first 2 shown]
	v_sub_f16_e32 v32, v4, v6
	v_sub_f16_e32 v33, v10, v8
	v_add_f16_e32 v52, v20, v5
	v_add_f16_e32 v54, v7, v9
	;; [unrolled: 1-line block ×3, first 2 shown]
	v_sub_f16_e32 v22, v39, v43
	v_sub_f16_e32 v23, v51, v47
	;; [unrolled: 1-line block ×4, first 2 shown]
	v_add_f16_e32 v27, v28, v4
	v_add_f16_e32 v29, v6, v8
	v_sub_f16_e32 v30, v39, v51
	v_sub_f16_e32 v31, v43, v47
	v_add_f16_e32 v34, v4, v10
	v_add_f16_e32 v36, v37, v41
	;; [unrolled: 1-line block ×3, first 2 shown]
	v_sub_f16_e32 v39, v5, v1
	v_sub_f16_e32 v40, v7, v9
	;; [unrolled: 1-line block ×3, first 2 shown]
	v_add_f16_e32 v46, v41, v53
	v_sub_f16_e32 v48, v45, v41
	v_sub_f16_e32 v41, v41, v53
	;; [unrolled: 1-line block ×4, first 2 shown]
	v_add_f16_e32 v11, v11, v43
	v_fma_f16 v43, -0.5, v12, v19
	v_fmac_f16_e32 v19, -0.5, v24
	v_add_f16_e32 v24, v32, v33
	v_add_f16_e32 v7, v52, v7
	v_fma_f16 v32, -0.5, v54, v20
	v_sub_f16_e32 v44, v53, v49
	v_sub_f16_e32 v55, v45, v49
	v_fmac_f16_e32 v20, -0.5, v58
	v_sub_f16_e32 v13, v4, v10
	v_sub_f16_e32 v21, v6, v8
	;; [unrolled: 1-line block ×6, first 2 shown]
	v_add_f16_e32 v12, v22, v23
	v_add_f16_e32 v22, v25, v26
	;; [unrolled: 1-line block ×3, first 2 shown]
	v_fma_f16 v23, -0.5, v29, v28
	v_fmac_f16_e32 v28, -0.5, v34
	v_add_f16_e32 v25, v36, v45
	v_fma_f16 v26, -0.5, v38, v37
	v_fmac_f16_e32 v37, -0.5, v46
	v_add_f16_e32 v7, v7, v9
	v_fmamk_f16 v9, v41, 0x3b9c, v32
	v_add_f16_e32 v27, v42, v44
	v_fmamk_f16 v44, v55, 0xbb9c, v20
	v_fmac_f16_e32 v20, 0x3b9c, v55
	v_fmac_f16_e32 v32, 0xbb9c, v41
	v_sub_f16_e32 v50, v49, v53
	v_add_f16_e32 v4, v4, v35
	v_add_f16_e32 v33, v56, v57
	;; [unrolled: 1-line block ×4, first 2 shown]
	v_fmamk_f16 v42, v31, 0xbb9c, v28
	v_fmac_f16_e32 v28, 0x3b9c, v31
	v_add_f16_e32 v8, v25, v49
	v_fmamk_f16 v25, v39, 0xbb9c, v26
	v_fmamk_f16 v35, v40, 0x3b9c, v37
	v_fmac_f16_e32 v37, 0xbb9c, v40
	v_fmac_f16_e32 v9, 0x38b4, v55
	v_add_f16_e32 v5, v5, v59
	v_fmamk_f16 v36, v21, 0x3b9c, v19
	v_fmac_f16_e32 v19, 0xbb9c, v21
	v_fmac_f16_e32 v44, 0x38b4, v41
	;; [unrolled: 1-line block ×3, first 2 shown]
	v_fmamk_f16 v38, v30, 0x3b9c, v23
	v_fmac_f16_e32 v23, 0xbb9c, v30
	v_fmac_f16_e32 v26, 0x3b9c, v39
	;; [unrolled: 1-line block ×3, first 2 shown]
	v_add_f16_e32 v29, v48, v50
	v_fmamk_f16 v34, v13, 0xbb9c, v43
	v_add_f16_e32 v11, v11, v51
	v_fmac_f16_e32 v42, 0x38b4, v30
	v_fmac_f16_e32 v28, 0xb8b4, v30
	v_add_f16_e32 v8, v8, v53
	v_fmac_f16_e32 v25, 0xb8b4, v40
	v_fmac_f16_e32 v35, 0xb8b4, v39
	;; [unrolled: 1-line block ×14, first 2 shown]
	v_add_f16_e32 v6, v6, v10
	v_add_f16_e32 v10, v7, v1
	v_fmac_f16_e32 v42, 0x34f2, v4
	v_fmac_f16_e32 v28, 0x34f2, v4
	;; [unrolled: 1-line block ×5, first 2 shown]
	v_add_f16_e32 v4, v11, v8
	v_sub_f16_e32 v7, v11, v8
	v_mul_f16_e32 v8, 0xb8b4, v9
	v_mul_f16_e32 v29, 0x3a79, v9
	v_fmac_f16_e32 v36, 0x34f2, v22
	v_fmac_f16_e32 v19, 0x34f2, v22
	v_mul_f16_e32 v11, 0xbb9c, v44
	v_mul_f16_e32 v22, 0xbb9c, v20
	;; [unrolled: 1-line block ×4, first 2 shown]
	v_fmac_f16_e32 v43, 0x38b4, v21
	v_fmac_f16_e32 v38, 0x34f2, v24
	;; [unrolled: 1-line block ×4, first 2 shown]
	v_mul_f16_e32 v24, 0xb8b4, v32
	v_mul_f16_e32 v31, 0xba79, v32
	v_fmac_f16_e32 v34, 0x34f2, v12
	v_fmac_f16_e32 v8, 0x3a79, v25
	;; [unrolled: 1-line block ×10, first 2 shown]
	v_add_f16_e32 v1, v6, v10
	v_add_f16_e32 v5, v34, v8
	;; [unrolled: 1-line block ×7, first 2 shown]
	v_sub_f16_e32 v27, v6, v10
	v_add_f16_e32 v6, v43, v24
	v_add_f16_e32 v35, v23, v31
	v_sub_f16_e32 v10, v34, v8
	v_sub_f16_e32 v11, v36, v11
	;; [unrolled: 1-line block ×8, first 2 shown]
	v_pack_b32_f16 v39, v4, v1
	v_pack_b32_f16 v19, v5, v21
	v_pack_b32_f16 v20, v12, v33
	v_pack_b32_f16 v22, v13, v32
	v_pack_b32_f16 v40, v7, v27
	v_pack_b32_f16 v23, v6, v35
	v_pack_b32_f16 v24, v10, v36
	v_pack_b32_f16 v25, v11, v37
	v_pack_b32_f16 v26, v8, v34
	v_pack_b32_f16 v28, v9, v31
	ds_write2_b32 v15, v39, v19 offset1:10
	ds_write2_b32 v15, v20, v22 offset0:20 offset1:30
	ds_write2_b32 v15, v23, v40 offset0:40 offset1:50
	;; [unrolled: 1-line block ×4, first 2 shown]
	s_waitcnt lgkmcnt(0)
	s_barrier
	buffer_gl0_inv
                                        ; implicit-def: $vgpr20
                                        ; implicit-def: $vgpr38
                                        ; implicit-def: $vgpr40
                                        ; implicit-def: $vgpr15
                                        ; implicit-def: $vgpr39
	s_and_saveexec_b32 s1, s0
	s_cbranch_execz .LBB0_19
; %bb.18:
	v_add_nc_u32_e32 v1, 0xe00, v16
	v_add_nc_u32_e32 v12, 0x200, v16
	ds_read2_b32 v[4:5], v16 offset1:100
	ds_read2_b32 v[8:9], v18 offset0:32 offset1:132
	ds_read_b32 v38, v16 offset:4800
	ds_read2_b32 v[6:7], v14 offset0:144 offset1:244
	ds_read2_b32 v[10:11], v17 offset0:88 offset1:188
	;; [unrolled: 1-line block ×4, first 2 shown]
	s_waitcnt lgkmcnt(6)
	v_lshrrev_b32_e32 v1, 16, v4
	s_waitcnt lgkmcnt(5)
	v_lshrrev_b32_e32 v34, 16, v8
	v_lshrrev_b32_e32 v31, 16, v9
	s_waitcnt lgkmcnt(4)
	v_lshrrev_b32_e32 v20, 16, v38
	;; [unrolled: 3-line block ×4, first 2 shown]
	s_waitcnt lgkmcnt(1)
	v_lshrrev_b32_e32 v39, 16, v14
	v_lshrrev_b32_e32 v40, 16, v15
	s_waitcnt lgkmcnt(0)
	v_lshrrev_b32_e32 v33, 16, v12
	v_lshrrev_b32_e32 v32, 16, v13
	;; [unrolled: 1-line block ×3, first 2 shown]
.LBB0_19:
	s_or_b32 exec_lo, exec_lo, s1
	s_barrier
	buffer_gl0_inv
	s_and_saveexec_b32 s1, s0
	s_cbranch_execz .LBB0_21
; %bb.20:
	v_add_nc_u32_e32 v17, 0xffffff9c, v0
	v_mov_b32_e32 v18, 0
	v_cndmask_b32_e64 v17, v17, v0, s0
	v_mul_i32_i24_e32 v17, 12, v17
	v_lshlrev_b64 v[17:18], 2, v[17:18]
	v_add_co_u32 v17, s0, s8, v17
	v_add_co_ci_u32_e64 v18, s0, s9, v18, s0
	s_clause 0x2
	global_load_dwordx4 v[41:44], v[17:18], off offset:392
	global_load_dwordx4 v[45:48], v[17:18], off offset:360
	;; [unrolled: 1-line block ×3, first 2 shown]
	s_waitcnt vmcnt(2)
	v_mul_f16_sdwa v53, v38, v44 dst_sel:DWORD dst_unused:UNUSED_PAD src0_sel:DWORD src1_sel:WORD_1
	s_waitcnt vmcnt(1)
	v_mul_f16_sdwa v54, v5, v45 dst_sel:DWORD dst_unused:UNUSED_PAD src0_sel:DWORD src1_sel:WORD_1
	v_mul_f16_sdwa v55, v21, v45 dst_sel:DWORD dst_unused:UNUSED_PAD src0_sel:DWORD src1_sel:WORD_1
	;; [unrolled: 1-line block ×6, first 2 shown]
	s_waitcnt vmcnt(0)
	v_mul_f16_sdwa v62, v8, v52 dst_sel:DWORD dst_unused:UNUSED_PAD src0_sel:DWORD src1_sel:WORD_1
	v_fma_f16 v20, v20, v44, -v53
	v_fma_f16 v53, v21, v45, -v54
	v_mul_f16_sdwa v30, v33, v46 dst_sel:DWORD dst_unused:UNUSED_PAD src0_sel:DWORD src1_sel:WORD_1
	v_mul_f16_sdwa v18, v40, v43 dst_sel:DWORD dst_unused:UNUSED_PAD src0_sel:DWORD src1_sel:WORD_1
	v_mul_f16_sdwa v58, v14, v42 dst_sel:DWORD dst_unused:UNUSED_PAD src0_sel:DWORD src1_sel:WORD_1
	v_mul_f16_sdwa v28, v32, v47 dst_sel:DWORD dst_unused:UNUSED_PAD src0_sel:DWORD src1_sel:WORD_1
	v_mul_f16_sdwa v60, v9, v41 dst_sel:DWORD dst_unused:UNUSED_PAD src0_sel:DWORD src1_sel:WORD_1
	v_mul_f16_sdwa v61, v6, v48 dst_sel:DWORD dst_unused:UNUSED_PAD src0_sel:DWORD src1_sel:WORD_1
	v_mul_f16_sdwa v23, v34, v52 dst_sel:DWORD dst_unused:UNUSED_PAD src0_sel:DWORD src1_sel:WORD_1
	v_mul_f16_sdwa v65, v10, v50 dst_sel:DWORD dst_unused:UNUSED_PAD src0_sel:DWORD src1_sel:WORD_1
	v_fmac_f16_e32 v17, v38, v44
	v_fma_f16 v21, v40, v43, -v56
	v_fma_f16 v33, v33, v46, -v57
	v_fmac_f16_e32 v55, v5, v45
	v_fmac_f16_e32 v22, v9, v41
	v_fma_f16 v9, v34, v52, -v62
	v_add_f16_e32 v34, v53, v20
	v_mul_f16_sdwa v59, v13, v47 dst_sel:DWORD dst_unused:UNUSED_PAD src0_sel:DWORD src1_sel:WORD_1
	v_mul_f16_sdwa v19, v39, v42 dst_sel:DWORD dst_unused:UNUSED_PAD src0_sel:DWORD src1_sel:WORD_1
	;; [unrolled: 1-line block ×6, first 2 shown]
	v_fmac_f16_e32 v30, v12, v46
	v_fmac_f16_e32 v18, v15, v43
	v_fma_f16 v12, v39, v42, -v58
	v_fmac_f16_e32 v28, v13, v47
	v_fma_f16 v13, v31, v41, -v60
	v_fma_f16 v31, v35, v48, -v61
	v_fmac_f16_e32 v23, v8, v52
	v_fma_f16 v15, v36, v50, -v65
	v_sub_f16_e32 v8, v55, v17
	v_add_f16_e32 v35, v33, v21
	v_sub_f16_e32 v36, v53, v20
	v_add_f16_e32 v43, v4, v55
	v_mul_f16_e32 v58, 0xb9fd, v34
	v_mul_f16_sdwa v63, v7, v49 dst_sel:DWORD dst_unused:UNUSED_PAD src0_sel:DWORD src1_sel:WORD_1
	v_mul_f16_sdwa v24, v37, v51 dst_sel:DWORD dst_unused:UNUSED_PAD src0_sel:DWORD src1_sel:WORD_1
	v_fma_f16 v32, v32, v47, -v59
	v_fmac_f16_e32 v19, v14, v42
	v_fmac_f16_e32 v29, v6, v48
	;; [unrolled: 1-line block ×3, first 2 shown]
	v_fma_f16 v14, v37, v51, -v64
	v_sub_f16_e32 v5, v30, v18
	v_add_f16_e32 v7, v55, v17
	v_add_f16_e32 v6, v30, v18
	v_sub_f16_e32 v37, v33, v21
	v_add_f16_e32 v44, v1, v53
	v_mul_f16_e32 v54, 0xbbc4, v34
	v_mul_f16_e32 v56, 0xb3a8, v36
	;; [unrolled: 1-line block ×5, first 2 shown]
	v_add_f16_e32 v30, v43, v30
	v_fmamk_f16 v86, v8, 0x394e, v58
	v_fma_f16 v27, v27, v49, -v63
	v_fmac_f16_e32 v25, v10, v50
	v_fmac_f16_e32 v24, v11, v51
	v_sub_f16_e32 v10, v28, v19
	v_sub_f16_e32 v46, v32, v12
	v_add_f16_e32 v11, v28, v19
	v_mul_f16_e32 v55, 0x3b15, v35
	v_mul_f16_e32 v57, 0x3770, v37
	;; [unrolled: 1-line block ×6, first 2 shown]
	v_add_f16_e32 v33, v44, v33
	v_mul_f16_e32 v44, 0x388b, v34
	v_fmamk_f16 v82, v8, 0x33a8, v54
	v_fmamk_f16 v84, v7, 0xbbc4, v56
	;; [unrolled: 1-line block ×5, first 2 shown]
	v_add_f16_e32 v28, v30, v28
	v_add_f16_e32 v86, v1, v86
	v_add_f16_e32 v45, v32, v12
	v_mul_f16_e32 v65, 0x394e, v37
	v_mul_f16_e32 v67, 0xbbc4, v35
	;; [unrolled: 1-line block ×6, first 2 shown]
	v_fmamk_f16 v83, v5, 0xb770, v55
	v_fmamk_f16 v85, v6, 0x3b15, v57
	v_fmamk_f16 v89, v6, 0x2fb7, v61
	v_fmamk_f16 v91, v5, 0xb94e, v63
	v_add_f16_e32 v32, v33, v32
	v_fmamk_f16 v33, v7, 0xb5ac, v64
	v_fmamk_f16 v30, v8, 0x3bf1, v66
	v_add_f16_e32 v82, v1, v82
	v_add_f16_e32 v28, v28, v29
	;; [unrolled: 1-line block ×6, first 2 shown]
	v_fmamk_f16 v87, v8, 0x3a95, v44
	v_fmac_f16_e32 v66, 0xbbf1, v8
	v_add_f16_e32 v47, v31, v13
	v_sub_f16_e32 v38, v29, v22
	v_sub_f16_e32 v48, v31, v13
	v_add_f16_e32 v39, v29, v22
	v_sub_f16_e32 v42, v26, v23
	v_add_f16_e32 v53, v26, v23
	v_mul_f16_e32 v43, 0xb3a8, v37
	v_mul_f16_e32 v71, 0xbb7b, v37
	;; [unrolled: 1-line block ×6, first 2 shown]
	v_add_f16_e32 v31, v32, v31
	v_fmamk_f16 v32, v6, 0xb9fd, v65
	v_fmamk_f16 v29, v5, 0x33a8, v67
	v_add_f16_e32 v82, v83, v82
	v_fmamk_f16 v83, v7, 0x2fb7, v68
	v_add_f16_e32 v84, v85, v84
	v_add_f16_e32 v88, v89, v88
	v_fmamk_f16 v89, v5, 0x3b7b, v69
	v_add_f16_e32 v33, v4, v33
	;; [unrolled: 3-line block ×3, first 2 shown]
	v_add_f16_e32 v87, v1, v87
	v_fmac_f16_e32 v67, 0xb3a8, v5
	v_add_f16_e32 v66, v1, v66
	v_add_f16_e32 v26, v28, v26
	v_fmamk_f16 v28, v11, 0xb9fd, v73
	v_mul_f16_e32 v35, 0x388b, v35
	v_mul_f16_e32 v37, 0xba95, v37
	;; [unrolled: 1-line block ×4, first 2 shown]
	v_fmamk_f16 v85, v6, 0xbbc4, v43
	v_add_f16_e32 v83, v4, v83
	v_add_f16_e32 v32, v32, v33
	v_fmamk_f16 v33, v6, 0xb5ac, v71
	v_add_f16_e32 v29, v29, v30
	v_fmamk_f16 v30, v8, 0x3770, v34
	v_add_f16_e32 v91, v4, v91
	v_add_f16_e32 v87, v89, v87
	v_fmamk_f16 v89, v7, 0x3b15, v36
	v_add_f16_e32 v66, v67, v66
	v_fmamk_f16 v67, v10, 0x394e, v72
	;; [unrolled: 2-line block ×3, first 2 shown]
	v_mul_f16_e32 v74, 0x388b, v45
	v_mul_f16_e32 v78, 0xb5ac, v45
	;; [unrolled: 1-line block ×4, first 2 shown]
	v_add_f16_e32 v83, v85, v83
	v_fmamk_f16 v85, v5, 0x3a95, v35
	v_fmac_f16_e32 v54, 0xb3a8, v8
	v_add_f16_e32 v30, v1, v30
	v_add_f16_e32 v33, v33, v91
	v_fmamk_f16 v91, v6, 0x388b, v37
	v_add_f16_e32 v89, v4, v89
	v_fma_f16 v56, v7, 0xbbc4, -v56
	v_fmac_f16_e32 v58, 0xb94e, v8
	v_fmac_f16_e32 v62, 0xbb7b, v8
	v_add_f16_e32 v67, v67, v82
	v_fmamk_f16 v82, v11, 0x388b, v75
	v_add_f16_e32 v84, v84, v90
	v_fmamk_f16 v90, v11, 0xb5ac, v79
	v_add_f16_e32 v51, v27, v9
	v_sub_f16_e32 v52, v27, v9
	v_mul_f16_e32 v77, 0x3770, v46
	v_mul_f16_e32 v81, 0xb3a8, v46
	;; [unrolled: 1-line block ×3, first 2 shown]
	v_fmac_f16_e32 v55, 0x3770, v5
	v_add_f16_e32 v54, v1, v54
	v_add_f16_e32 v30, v85, v30
	v_mul_f16_e32 v85, 0x388b, v47
	v_add_f16_e32 v89, v91, v89
	v_mul_f16_e32 v91, 0x3a95, v48
	v_fma_f16 v57, v6, 0x3b15, -v57
	v_fma_f16 v60, v7, 0xb9fd, -v60
	v_add_f16_e32 v56, v4, v56
	v_fmac_f16_e32 v59, 0x3bf1, v5
	v_add_f16_e32 v58, v1, v58
	v_fma_f16 v64, v7, 0xb5ac, -v64
	v_fmac_f16_e32 v63, 0x394e, v5
	v_add_f16_e32 v62, v1, v62
	v_add_f16_e32 v27, v31, v27
	v_fmamk_f16 v31, v10, 0x3a95, v74
	v_add_f16_e32 v82, v82, v88
	v_fmamk_f16 v88, v10, 0xbb7b, v78
	;; [unrolled: 2-line block ×3, first 2 shown]
	v_fmac_f16_e32 v78, 0x3b7b, v10
	v_sub_f16_e32 v41, v25, v24
	v_add_f16_e32 v40, v25, v24
	v_add_f16_e32 v54, v55, v54
	v_mul_f16_e32 v55, 0xbbc4, v47
	v_fma_f16 v61, v6, 0x2fb7, -v61
	v_add_f16_e32 v60, v4, v60
	v_add_f16_e32 v56, v57, v56
	v_mul_f16_e32 v57, 0x33a8, v48
	v_add_f16_e32 v58, v59, v58
	v_mul_f16_e32 v59, 0x2fb7, v47
	v_fma_f16 v65, v6, 0xb9fd, -v65
	v_add_f16_e32 v64, v4, v64
	v_add_f16_e32 v62, v63, v62
	;; [unrolled: 1-line block ×3, first 2 shown]
	v_fmamk_f16 v86, v11, 0x3b15, v77
	v_add_f16_e32 v30, v90, v30
	v_fmamk_f16 v90, v11, 0x2fb7, v46
	v_fmac_f16_e32 v72, 0xb94e, v10
	v_fmac_f16_e32 v76, 0x3770, v10
	v_add_f16_e32 v66, v78, v66
	v_fmamk_f16 v78, v38, 0xba95, v85
	v_add_f16_e32 v25, v26, v25
	v_fmamk_f16 v26, v39, 0x388b, v91
	v_add_f16_e32 v49, v15, v14
	v_sub_f16_e32 v50, v15, v14
	v_add_f16_e32 v60, v61, v60
	v_mul_f16_e32 v61, 0xbbf1, v48
	v_mul_f16_e32 v63, 0x3b15, v47
	v_add_f16_e32 v64, v65, v64
	v_mul_f16_e32 v65, 0x3770, v48
	v_add_f16_e32 v32, v86, v32
	v_fmamk_f16 v86, v10, 0x33a8, v80
	v_add_f16_e32 v29, v88, v29
	v_fmamk_f16 v88, v11, 0xbbc4, v81
	v_fma_f16 v73, v11, 0xb9fd, -v73
	v_add_f16_e32 v89, v90, v89
	v_mul_f16_e32 v90, 0xb5ac, v51
	v_add_f16_e32 v54, v72, v54
	v_fma_f16 v77, v11, 0x3b15, -v77
	v_add_f16_e32 v62, v76, v62
	v_add_f16_e32 v15, v27, v15
	v_fmamk_f16 v27, v38, 0xb3a8, v55
	v_add_f16_e32 v67, v78, v67
	v_fmamk_f16 v78, v39, 0xbbc4, v57
	v_add_f16_e32 v26, v26, v28
	v_fmamk_f16 v28, v38, 0x3bf1, v59
	v_fmac_f16_e32 v85, 0x3a95, v38
	v_fmac_f16_e32 v59, 0xbbf1, v38
	v_add_f16_e32 v86, v86, v87
	v_mul_f16_e32 v87, 0xb9fd, v47
	v_add_f16_e32 v33, v88, v33
	v_mul_f16_e32 v88, 0x394e, v48
	v_mul_f16_e32 v47, 0xb5ac, v47
	;; [unrolled: 1-line block ×3, first 2 shown]
	v_add_f16_e32 v56, v73, v56
	v_mul_f16_e32 v73, 0x3b15, v51
	v_fma_f16 v75, v11, 0x388b, -v75
	v_add_f16_e32 v64, v77, v64
	v_add_f16_e32 v27, v27, v31
	v_fmamk_f16 v31, v39, 0x2fb7, v61
	v_add_f16_e32 v78, v78, v82
	v_fmamk_f16 v82, v38, 0xb770, v63
	;; [unrolled: 2-line block ×3, first 2 shown]
	v_add_f16_e32 v24, v25, v24
	v_mul_f16_e32 v25, 0x2fb7, v49
	v_add_f16_e32 v14, v15, v14
	v_add_f16_e32 v54, v85, v54
	v_fma_f16 v61, v39, 0x2fb7, -v61
	v_fmac_f16_e32 v63, 0x3770, v38
	v_add_f16_e32 v59, v59, v62
	v_fmamk_f16 v62, v42, 0x3b7b, v90
	v_fmac_f16_e32 v90, 0xbb7b, v42
	v_fma_f16 v68, v7, 0x2fb7, -v68
	v_mul_f16_e32 v48, 0xbb7b, v48
	v_add_f16_e32 v60, v75, v60
	v_mul_f16_e32 v75, 0xbbc4, v51
	v_mul_f16_e32 v76, 0x33a8, v52
	v_add_f16_e32 v31, v31, v32
	v_fmamk_f16 v32, v38, 0xb94e, v87
	v_add_f16_e32 v29, v82, v29
	v_fmamk_f16 v82, v39, 0xb9fd, v88
	;; [unrolled: 2-line block ×5, first 2 shown]
	v_add_f16_e32 v23, v24, v23
	v_add_f16_e32 v9, v14, v9
	v_fmamk_f16 v14, v41, 0xbbf1, v25
	v_add_f16_e32 v54, v90, v54
	v_fmac_f16_e32 v25, 0x3bf1, v41
	v_fma_f16 v43, v6, 0xbbc4, -v43
	v_add_f16_e32 v68, v4, v68
	v_fmac_f16_e32 v44, 0xba95, v8
	v_fmac_f16_e32 v74, 0xba95, v10
	v_add_f16_e32 v32, v32, v86
	v_fmamk_f16 v86, v39, 0xb5ac, v48
	v_add_f16_e32 v33, v82, v33
	v_mul_f16_e32 v82, 0xba95, v52
	v_add_f16_e32 v30, v84, v30
	v_mul_f16_e32 v84, 0x2fb7, v51
	v_add_f16_e32 v26, v64, v26
	v_fmamk_f16 v64, v42, 0xb3a8, v75
	v_add_f16_e32 v27, v66, v27
	v_fmamk_f16 v66, v53, 0xbbc4, v76
	v_add_f16_e32 v22, v23, v22
	v_add_f16_e32 v9, v9, v13
	;; [unrolled: 1-line block ×4, first 2 shown]
	v_fma_f16 v54, v11, 0xb5ac, -v79
	v_add_f16_e32 v44, v1, v44
	v_fmac_f16_e32 v69, 0xbb7b, v5
	v_add_f16_e32 v58, v74, v58
	v_mul_f16_e32 v74, 0x3770, v52
	v_mul_f16_e32 v77, 0x388b, v51
	v_add_f16_e32 v86, v86, v89
	v_mul_f16_e32 v89, 0x3bf1, v52
	v_mul_f16_e32 v51, 0xb9fd, v51
	;; [unrolled: 1-line block ×3, first 2 shown]
	v_add_f16_e32 v28, v64, v28
	v_fmamk_f16 v64, v53, 0x388b, v82
	v_add_f16_e32 v31, v66, v31
	v_fmamk_f16 v66, v42, 0xbbf1, v84
	v_add_f16_e32 v19, v22, v19
	v_add_f16_e32 v22, v54, v43
	;; [unrolled: 1-line block ×3, first 2 shown]
	v_fmac_f16_e32 v80, 0xb3a8, v10
	v_add_f16_e32 v64, v64, v83
	v_fmamk_f16 v83, v42, 0x394e, v51
	v_add_f16_e32 v32, v66, v32
	v_fmamk_f16 v66, v53, 0xb9fd, v52
	v_add_f16_e32 v9, v9, v12
	v_add_f16_e32 v12, v19, v18
	v_fma_f16 v18, v39, 0x3b15, -v65
	v_add_f16_e32 v19, v80, v43
	v_fmac_f16_e32 v87, 0x394e, v38
	v_add_f16_e32 v62, v62, v67
	v_add_f16_e32 v30, v83, v30
	v_mul_f16_e32 v83, 0xb94e, v50
	v_add_f16_e32 v66, v66, v86
	v_mul_f16_e32 v86, 0x3b15, v49
	v_add_f16_e32 v9, v9, v21
	v_add_f16_e32 v18, v18, v22
	v_fma_f16 v21, v53, 0x388b, -v82
	v_add_f16_e32 v19, v87, v19
	v_fmac_f16_e32 v84, 0x3bf1, v42
	v_fmamk_f16 v67, v53, 0x3b15, v74
	v_add_f16_e32 v14, v14, v62
	v_fmamk_f16 v62, v41, 0xb770, v86
	v_add_f16_e32 v12, v12, v17
	v_add_f16_e32 v17, v21, v18
	v_fma_f16 v18, v40, 0xb9fd, -v83
	v_add_f16_e32 v19, v84, v19
	v_fmac_f16_e32 v86, 0x3770, v41
	v_add_f16_e32 v9, v9, v20
	v_fma_f16 v20, v7, 0x388b, -v70
	v_fmac_f16_e32 v34, 0xb770, v8
	v_fma_f16 v7, v7, 0x3b15, -v36
	v_fma_f16 v91, v39, 0x388b, -v91
	v_fmac_f16_e32 v55, 0x33a8, v38
	v_add_f16_e32 v67, v67, v78
	v_fmamk_f16 v78, v42, 0x3a95, v77
	v_add_f16_e32 v17, v18, v17
	v_add_f16_e32 v8, v86, v19
	;; [unrolled: 1-line block ×3, first 2 shown]
	v_fma_f16 v19, v6, 0xb5ac, -v71
	v_add_f16_e32 v1, v1, v34
	v_fmac_f16_e32 v35, 0xba95, v5
	v_add_f16_e32 v4, v4, v7
	v_fma_f16 v5, v6, 0x388b, -v37
	v_mul_f16_e32 v85, 0xb5ac, v49
	v_add_f16_e32 v56, v91, v56
	v_mul_f16_e32 v91, 0xbb7b, v50
	v_fma_f16 v57, v39, 0xbbc4, -v57
	v_add_f16_e32 v55, v55, v58
	v_add_f16_e32 v29, v78, v29
	v_fmamk_f16 v78, v53, 0x2fb7, v89
	v_fma_f16 v72, v53, 0xb5ac, -v72
	v_fmac_f16_e32 v73, 0x3770, v42
	v_mul_f16_e32 v15, 0x3bf1, v50
	v_add_f16_e32 v6, v19, v18
	v_fma_f16 v7, v11, 0xbbc4, -v81
	v_add_f16_e32 v1, v35, v1
	v_fmac_f16_e32 v45, 0xbbf1, v10
	v_add_f16_e32 v4, v5, v4
	v_fma_f16 v5, v11, 0x2fb7, -v46
	v_mul_f16_e32 v58, 0x388b, v49
	v_add_f16_e32 v57, v57, v60
	v_mul_f16_e32 v60, 0x3a95, v50
	v_add_f16_e32 v33, v78, v33
	v_mul_f16_e32 v78, 0xb9fd, v49
	v_mul_f16_e32 v24, 0x3770, v50
	;; [unrolled: 1-line block ×4, first 2 shown]
	v_add_f16_e32 v56, v72, v56
	v_fmamk_f16 v72, v41, 0x3b7b, v85
	v_add_f16_e32 v55, v73, v55
	v_fmamk_f16 v73, v40, 0xb5ac, v91
	v_fma_f16 v76, v53, 0xbbc4, -v76
	v_fmac_f16_e32 v77, 0xba95, v42
	v_fmamk_f16 v90, v40, 0x2fb7, v15
	v_add_f16_e32 v6, v7, v6
	v_fma_f16 v7, v39, 0xb9fd, -v88
	v_add_f16_e32 v1, v45, v1
	v_fmac_f16_e32 v47, 0xbb7b, v38
	v_add_f16_e32 v4, v5, v4
	v_fma_f16 v5, v39, 0xb5ac, -v48
	v_fma_f16 v74, v53, 0x3b15, -v74
	v_fmac_f16_e32 v75, 0x33a8, v42
	v_add_f16_e32 v27, v72, v27
	v_fmamk_f16 v72, v41, 0x33a8, v49
	v_add_f16_e32 v67, v73, v67
	v_fmamk_f16 v73, v40, 0xbbc4, v50
	;; [unrolled: 2-line block ×5, first 2 shown]
	v_fma_f16 v15, v40, 0x2fb7, -v15
	v_add_f16_e32 v6, v7, v6
	v_fma_f16 v7, v53, 0x2fb7, -v89
	v_add_f16_e32 v1, v47, v1
	v_fmac_f16_e32 v51, 0xb94e, v42
	v_add_f16_e32 v4, v5, v4
	v_fma_f16 v5, v53, 0xb9fd, -v52
	v_add_f16_e32 v57, v74, v57
	v_fmamk_f16 v74, v41, 0xba95, v58
	v_add_f16_e32 v59, v75, v59
	v_fmamk_f16 v75, v40, 0x388b, v60
	v_add_f16_e32 v32, v62, v32
	v_add_f16_e32 v30, v72, v30
	;; [unrolled: 1-line block ×6, first 2 shown]
	v_fmac_f16_e32 v85, 0xbb7b, v41
	v_fma_f16 v91, v40, 0xb5ac, -v91
	v_add_f16_e32 v15, v15, v56
	v_fmac_f16_e32 v58, 0x3a95, v41
	v_fma_f16 v56, v40, 0x388b, -v60
	v_fmac_f16_e32 v78, 0xb94e, v41
	v_add_f16_e32 v6, v7, v6
	v_fma_f16 v7, v40, 0x3b15, -v24
	v_add_f16_e32 v1, v51, v1
	v_fmac_f16_e32 v49, 0xb3a8, v41
	v_add_f16_e32 v4, v5, v4
	v_fma_f16 v5, v40, 0xbbc4, -v50
	v_add_f16_e32 v28, v74, v28
	v_add_f16_e32 v31, v75, v31
	v_pack_b32_f16 v9, v12, v9
	v_pack_b32_f16 v10, v62, v30
	;; [unrolled: 1-line block ×4, first 2 shown]
	v_add_nc_u32_e32 v18, 0x200, v16
	v_add_f16_e32 v23, v85, v55
	v_add_f16_e32 v25, v91, v57
	v_add_f16_e32 v55, v58, v59
	v_add_f16_e32 v44, v56, v61
	v_add_f16_e32 v22, v78, v63
	v_add_f16_e32 v6, v7, v6
	v_add_f16_e32 v1, v49, v1
	v_add_f16_e32 v4, v5, v4
	ds_write2_b32 v16, v9, v10 offset1:100
	ds_write2_b32 v18, v11, v12 offset0:72 offset1:172
	v_pack_b32_f16 v5, v31, v28
	v_pack_b32_f16 v7, v67, v27
	v_add_nc_u32_e32 v9, 0x400, v16
	v_pack_b32_f16 v10, v26, v14
	v_pack_b32_f16 v11, v15, v13
	v_add_nc_u32_e32 v12, 0x800, v16
	;; [unrolled: 3-line block ×4, first 2 shown]
	v_pack_b32_f16 v1, v4, v1
	ds_write2_b32 v9, v5, v7 offset0:144 offset1:244
	ds_write2_b32 v12, v10, v11 offset0:88 offset1:188
	;; [unrolled: 1-line block ×4, first 2 shown]
	ds_write_b32 v16, v1 offset:4800
.LBB0_21:
	s_or_b32 exec_lo, exec_lo, s1
	s_waitcnt lgkmcnt(0)
	s_barrier
	buffer_gl0_inv
	s_and_saveexec_b32 s0, vcc_lo
	s_cbranch_execz .LBB0_23
; %bb.22:
	v_lshl_add_u32 v18, v0, 2, 0
	v_mov_b32_e32 v1, 0
	v_add_co_u32 v19, vcc_lo, s2, v2
	v_add_co_ci_u32_e32 v20, vcc_lo, s3, v3, vcc_lo
	ds_read2_b32 v[4:5], v18 offset1:130
	v_lshlrev_b64 v[10:11], 2, v[0:1]
	v_add_nc_u32_e32 v2, 0x82, v0
	v_mov_b32_e32 v3, v1
	v_add_nc_u32_e32 v12, 0x400, v18
	v_add_nc_u32_e32 v13, 0x800, v18
	v_add_nc_u32_e32 v6, 0x104, v0
	v_add_co_u32 v10, vcc_lo, v19, v10
	v_add_co_ci_u32_e32 v11, vcc_lo, v20, v11, vcc_lo
	v_mov_b32_e32 v7, v1
	v_lshlrev_b64 v[2:3], 2, v[2:3]
	v_add_nc_u32_e32 v8, 0x186, v0
	v_mov_b32_e32 v9, v1
	ds_read2_b32 v[14:15], v13 offset0:8 offset1:138
	v_lshlrev_b64 v[6:7], 2, v[6:7]
	v_mov_b32_e32 v13, v1
	v_add_co_u32 v2, vcc_lo, v19, v2
	s_waitcnt lgkmcnt(1)
	global_store_dword v[10:11], v4, off
	ds_read2_b32 v[10:11], v12 offset0:4 offset1:134
	v_add_nc_u32_e32 v12, 0x208, v0
	v_lshlrev_b64 v[8:9], 2, v[8:9]
	v_add_co_ci_u32_e32 v3, vcc_lo, v20, v3, vcc_lo
	v_add_co_u32 v6, vcc_lo, v19, v6
	v_lshlrev_b64 v[12:13], 2, v[12:13]
	v_add_co_ci_u32_e32 v7, vcc_lo, v20, v7, vcc_lo
	v_add_co_u32 v8, vcc_lo, v19, v8
	v_add_co_ci_u32_e32 v9, vcc_lo, v20, v9, vcc_lo
	v_add_co_u32 v12, vcc_lo, v19, v12
	v_add_co_ci_u32_e32 v13, vcc_lo, v20, v13, vcc_lo
	v_add_nc_u32_e32 v16, 0x28a, v0
	v_mov_b32_e32 v17, v1
	global_store_dword v[2:3], v5, off
	s_waitcnt lgkmcnt(0)
	global_store_dword v[6:7], v10, off
	global_store_dword v[8:9], v11, off
	;; [unrolled: 1-line block ×3, first 2 shown]
	v_add_nc_u32_e32 v8, 0xc00, v18
	v_add_nc_u32_e32 v4, 0x30c, v0
	v_mov_b32_e32 v5, v1
	v_add_nc_u32_e32 v12, 0x1000, v18
	v_lshlrev_b64 v[2:3], 2, v[16:17]
	v_add_nc_u32_e32 v6, 0x38e, v0
	v_mov_b32_e32 v7, v1
	ds_read2_b32 v[8:9], v8 offset0:12 offset1:142
	v_lshlrev_b64 v[4:5], 2, v[4:5]
	v_add_nc_u32_e32 v10, 0x410, v0
	v_mov_b32_e32 v11, v1
	ds_read2_b32 v[12:13], v12 offset0:16 offset1:146
	v_add_co_u32 v2, vcc_lo, v19, v2
	v_lshlrev_b64 v[6:7], 2, v[6:7]
	v_add_nc_u32_e32 v0, 0x492, v0
	v_add_co_ci_u32_e32 v3, vcc_lo, v20, v3, vcc_lo
	v_add_co_u32 v4, vcc_lo, v19, v4
	v_lshlrev_b64 v[10:11], 2, v[10:11]
	v_add_co_ci_u32_e32 v5, vcc_lo, v20, v5, vcc_lo
	v_add_co_u32 v6, vcc_lo, v19, v6
	v_lshlrev_b64 v[0:1], 2, v[0:1]
	v_add_co_ci_u32_e32 v7, vcc_lo, v20, v7, vcc_lo
	v_add_co_u32 v10, vcc_lo, v19, v10
	v_add_co_ci_u32_e32 v11, vcc_lo, v20, v11, vcc_lo
	v_add_co_u32 v0, vcc_lo, v19, v0
	v_add_co_ci_u32_e32 v1, vcc_lo, v20, v1, vcc_lo
	global_store_dword v[2:3], v15, off
	s_waitcnt lgkmcnt(1)
	global_store_dword v[4:5], v8, off
	global_store_dword v[6:7], v9, off
	s_waitcnt lgkmcnt(0)
	global_store_dword v[10:11], v12, off
	global_store_dword v[0:1], v13, off
.LBB0_23:
	s_endpgm
	.section	.rodata,"a",@progbits
	.p2align	6, 0x0
	.amdhsa_kernel fft_rtc_back_len1300_factors_10_10_13_wgs_130_tpt_130_half_ip_CI_unitstride_sbrr_C2R_dirReg
		.amdhsa_group_segment_fixed_size 0
		.amdhsa_private_segment_fixed_size 0
		.amdhsa_kernarg_size 88
		.amdhsa_user_sgpr_count 6
		.amdhsa_user_sgpr_private_segment_buffer 1
		.amdhsa_user_sgpr_dispatch_ptr 0
		.amdhsa_user_sgpr_queue_ptr 0
		.amdhsa_user_sgpr_kernarg_segment_ptr 1
		.amdhsa_user_sgpr_dispatch_id 0
		.amdhsa_user_sgpr_flat_scratch_init 0
		.amdhsa_user_sgpr_private_segment_size 0
		.amdhsa_wavefront_size32 1
		.amdhsa_uses_dynamic_stack 0
		.amdhsa_system_sgpr_private_segment_wavefront_offset 0
		.amdhsa_system_sgpr_workgroup_id_x 1
		.amdhsa_system_sgpr_workgroup_id_y 0
		.amdhsa_system_sgpr_workgroup_id_z 0
		.amdhsa_system_sgpr_workgroup_info 0
		.amdhsa_system_vgpr_workitem_id 0
		.amdhsa_next_free_vgpr 92
		.amdhsa_next_free_sgpr 21
		.amdhsa_reserve_vcc 1
		.amdhsa_reserve_flat_scratch 0
		.amdhsa_float_round_mode_32 0
		.amdhsa_float_round_mode_16_64 0
		.amdhsa_float_denorm_mode_32 3
		.amdhsa_float_denorm_mode_16_64 3
		.amdhsa_dx10_clamp 1
		.amdhsa_ieee_mode 1
		.amdhsa_fp16_overflow 0
		.amdhsa_workgroup_processor_mode 1
		.amdhsa_memory_ordered 1
		.amdhsa_forward_progress 0
		.amdhsa_shared_vgpr_count 0
		.amdhsa_exception_fp_ieee_invalid_op 0
		.amdhsa_exception_fp_denorm_src 0
		.amdhsa_exception_fp_ieee_div_zero 0
		.amdhsa_exception_fp_ieee_overflow 0
		.amdhsa_exception_fp_ieee_underflow 0
		.amdhsa_exception_fp_ieee_inexact 0
		.amdhsa_exception_int_div_zero 0
	.end_amdhsa_kernel
	.text
.Lfunc_end0:
	.size	fft_rtc_back_len1300_factors_10_10_13_wgs_130_tpt_130_half_ip_CI_unitstride_sbrr_C2R_dirReg, .Lfunc_end0-fft_rtc_back_len1300_factors_10_10_13_wgs_130_tpt_130_half_ip_CI_unitstride_sbrr_C2R_dirReg
                                        ; -- End function
	.section	.AMDGPU.csdata,"",@progbits
; Kernel info:
; codeLenInByte = 9076
; NumSgprs: 23
; NumVgprs: 92
; ScratchSize: 0
; MemoryBound: 0
; FloatMode: 240
; IeeeMode: 1
; LDSByteSize: 0 bytes/workgroup (compile time only)
; SGPRBlocks: 2
; VGPRBlocks: 11
; NumSGPRsForWavesPerEU: 23
; NumVGPRsForWavesPerEU: 92
; Occupancy: 10
; WaveLimiterHint : 1
; COMPUTE_PGM_RSRC2:SCRATCH_EN: 0
; COMPUTE_PGM_RSRC2:USER_SGPR: 6
; COMPUTE_PGM_RSRC2:TRAP_HANDLER: 0
; COMPUTE_PGM_RSRC2:TGID_X_EN: 1
; COMPUTE_PGM_RSRC2:TGID_Y_EN: 0
; COMPUTE_PGM_RSRC2:TGID_Z_EN: 0
; COMPUTE_PGM_RSRC2:TIDIG_COMP_CNT: 0
	.text
	.p2alignl 6, 3214868480
	.fill 48, 4, 3214868480
	.type	__hip_cuid_d9d01d9ce13efbaf,@object ; @__hip_cuid_d9d01d9ce13efbaf
	.section	.bss,"aw",@nobits
	.globl	__hip_cuid_d9d01d9ce13efbaf
__hip_cuid_d9d01d9ce13efbaf:
	.byte	0                               ; 0x0
	.size	__hip_cuid_d9d01d9ce13efbaf, 1

	.ident	"AMD clang version 19.0.0git (https://github.com/RadeonOpenCompute/llvm-project roc-6.4.0 25133 c7fe45cf4b819c5991fe208aaa96edf142730f1d)"
	.section	".note.GNU-stack","",@progbits
	.addrsig
	.addrsig_sym __hip_cuid_d9d01d9ce13efbaf
	.amdgpu_metadata
---
amdhsa.kernels:
  - .args:
      - .actual_access:  read_only
        .address_space:  global
        .offset:         0
        .size:           8
        .value_kind:     global_buffer
      - .offset:         8
        .size:           8
        .value_kind:     by_value
      - .actual_access:  read_only
        .address_space:  global
        .offset:         16
        .size:           8
        .value_kind:     global_buffer
      - .actual_access:  read_only
        .address_space:  global
        .offset:         24
        .size:           8
        .value_kind:     global_buffer
      - .offset:         32
        .size:           8
        .value_kind:     by_value
      - .actual_access:  read_only
        .address_space:  global
        .offset:         40
        .size:           8
        .value_kind:     global_buffer
      - .actual_access:  read_only
        .address_space:  global
        .offset:         48
        .size:           8
        .value_kind:     global_buffer
      - .offset:         56
        .size:           4
        .value_kind:     by_value
      - .actual_access:  read_only
        .address_space:  global
        .offset:         64
        .size:           8
        .value_kind:     global_buffer
      - .actual_access:  read_only
        .address_space:  global
        .offset:         72
        .size:           8
        .value_kind:     global_buffer
      - .address_space:  global
        .offset:         80
        .size:           8
        .value_kind:     global_buffer
    .group_segment_fixed_size: 0
    .kernarg_segment_align: 8
    .kernarg_segment_size: 88
    .language:       OpenCL C
    .language_version:
      - 2
      - 0
    .max_flat_workgroup_size: 130
    .name:           fft_rtc_back_len1300_factors_10_10_13_wgs_130_tpt_130_half_ip_CI_unitstride_sbrr_C2R_dirReg
    .private_segment_fixed_size: 0
    .sgpr_count:     23
    .sgpr_spill_count: 0
    .symbol:         fft_rtc_back_len1300_factors_10_10_13_wgs_130_tpt_130_half_ip_CI_unitstride_sbrr_C2R_dirReg.kd
    .uniform_work_group_size: 1
    .uses_dynamic_stack: false
    .vgpr_count:     92
    .vgpr_spill_count: 0
    .wavefront_size: 32
    .workgroup_processor_mode: 1
amdhsa.target:   amdgcn-amd-amdhsa--gfx1030
amdhsa.version:
  - 1
  - 2
...

	.end_amdgpu_metadata
